;; amdgpu-corpus repo=ROCm/rocFFT kind=compiled arch=gfx906 opt=O3
	.text
	.amdgcn_target "amdgcn-amd-amdhsa--gfx906"
	.amdhsa_code_object_version 6
	.protected	fft_rtc_back_len1620_factors_10_3_3_6_3_wgs_162_tpt_162_halfLds_sp_op_CI_CI_unitstride_sbrr_dirReg ; -- Begin function fft_rtc_back_len1620_factors_10_3_3_6_3_wgs_162_tpt_162_halfLds_sp_op_CI_CI_unitstride_sbrr_dirReg
	.globl	fft_rtc_back_len1620_factors_10_3_3_6_3_wgs_162_tpt_162_halfLds_sp_op_CI_CI_unitstride_sbrr_dirReg
	.p2align	8
	.type	fft_rtc_back_len1620_factors_10_3_3_6_3_wgs_162_tpt_162_halfLds_sp_op_CI_CI_unitstride_sbrr_dirReg,@function
fft_rtc_back_len1620_factors_10_3_3_6_3_wgs_162_tpt_162_halfLds_sp_op_CI_CI_unitstride_sbrr_dirReg: ; @fft_rtc_back_len1620_factors_10_3_3_6_3_wgs_162_tpt_162_halfLds_sp_op_CI_CI_unitstride_sbrr_dirReg
; %bb.0:
	s_load_dwordx4 s[12:15], s[4:5], 0x58
	s_load_dwordx4 s[8:11], s[4:5], 0x0
	;; [unrolled: 1-line block ×3, first 2 shown]
	v_mul_u32_u24_e32 v1, 0x195, v0
	v_mov_b32_e32 v7, 0
	v_mov_b32_e32 v5, 0
	s_waitcnt lgkmcnt(0)
	v_cmp_lt_u64_e64 s[0:1], s[10:11], 2
	v_add_u32_sdwa v9, s6, v1 dst_sel:DWORD dst_unused:UNUSED_PAD src0_sel:DWORD src1_sel:WORD_1
	v_mov_b32_e32 v10, v7
	s_and_b64 vcc, exec, s[0:1]
	v_mov_b32_e32 v6, 0
	s_cbranch_vccnz .LBB0_8
; %bb.1:
	s_load_dwordx2 s[0:1], s[4:5], 0x10
	s_add_u32 s2, s18, 8
	s_addc_u32 s3, s19, 0
	s_add_u32 s6, s16, 8
	s_addc_u32 s7, s17, 0
	v_mov_b32_e32 v5, 0
	s_waitcnt lgkmcnt(0)
	s_add_u32 s20, s0, 8
	v_mov_b32_e32 v6, 0
	v_mov_b32_e32 v1, v5
	s_addc_u32 s21, s1, 0
	s_mov_b64 s[22:23], 1
	v_mov_b32_e32 v2, v6
.LBB0_2:                                ; =>This Inner Loop Header: Depth=1
	s_load_dwordx2 s[24:25], s[20:21], 0x0
                                        ; implicit-def: $vgpr3_vgpr4
	s_waitcnt lgkmcnt(0)
	v_or_b32_e32 v8, s25, v10
	v_cmp_ne_u64_e32 vcc, 0, v[7:8]
	s_and_saveexec_b64 s[0:1], vcc
	s_xor_b64 s[26:27], exec, s[0:1]
	s_cbranch_execz .LBB0_4
; %bb.3:                                ;   in Loop: Header=BB0_2 Depth=1
	v_cvt_f32_u32_e32 v3, s24
	v_cvt_f32_u32_e32 v4, s25
	s_sub_u32 s0, 0, s24
	s_subb_u32 s1, 0, s25
	v_mac_f32_e32 v3, 0x4f800000, v4
	v_rcp_f32_e32 v3, v3
	v_mul_f32_e32 v3, 0x5f7ffffc, v3
	v_mul_f32_e32 v4, 0x2f800000, v3
	v_trunc_f32_e32 v4, v4
	v_mac_f32_e32 v3, 0xcf800000, v4
	v_cvt_u32_f32_e32 v4, v4
	v_cvt_u32_f32_e32 v3, v3
	v_mul_lo_u32 v8, s0, v4
	v_mul_hi_u32 v11, s0, v3
	v_mul_lo_u32 v13, s1, v3
	v_mul_lo_u32 v12, s0, v3
	v_add_u32_e32 v8, v11, v8
	v_add_u32_e32 v8, v8, v13
	v_mul_hi_u32 v11, v3, v12
	v_mul_lo_u32 v13, v3, v8
	v_mul_hi_u32 v15, v3, v8
	v_mul_hi_u32 v14, v4, v12
	v_mul_lo_u32 v12, v4, v12
	v_mul_hi_u32 v16, v4, v8
	v_add_co_u32_e32 v11, vcc, v11, v13
	v_addc_co_u32_e32 v13, vcc, 0, v15, vcc
	v_mul_lo_u32 v8, v4, v8
	v_add_co_u32_e32 v11, vcc, v11, v12
	v_addc_co_u32_e32 v11, vcc, v13, v14, vcc
	v_addc_co_u32_e32 v12, vcc, 0, v16, vcc
	v_add_co_u32_e32 v8, vcc, v11, v8
	v_addc_co_u32_e32 v11, vcc, 0, v12, vcc
	v_add_co_u32_e32 v3, vcc, v3, v8
	v_addc_co_u32_e32 v4, vcc, v4, v11, vcc
	v_mul_lo_u32 v8, s0, v4
	v_mul_hi_u32 v11, s0, v3
	v_mul_lo_u32 v12, s1, v3
	v_mul_lo_u32 v13, s0, v3
	v_add_u32_e32 v8, v11, v8
	v_add_u32_e32 v8, v8, v12
	v_mul_lo_u32 v14, v3, v8
	v_mul_hi_u32 v15, v3, v13
	v_mul_hi_u32 v16, v3, v8
	v_mul_hi_u32 v12, v4, v13
	v_mul_lo_u32 v13, v4, v13
	v_mul_hi_u32 v11, v4, v8
	v_add_co_u32_e32 v14, vcc, v15, v14
	v_addc_co_u32_e32 v15, vcc, 0, v16, vcc
	v_mul_lo_u32 v8, v4, v8
	v_add_co_u32_e32 v13, vcc, v14, v13
	v_addc_co_u32_e32 v12, vcc, v15, v12, vcc
	v_addc_co_u32_e32 v11, vcc, 0, v11, vcc
	v_add_co_u32_e32 v8, vcc, v12, v8
	v_addc_co_u32_e32 v11, vcc, 0, v11, vcc
	v_add_co_u32_e32 v8, vcc, v3, v8
	v_addc_co_u32_e32 v11, vcc, v4, v11, vcc
	v_mad_u64_u32 v[3:4], s[0:1], v9, v11, 0
	v_mul_hi_u32 v12, v9, v8
	v_add_co_u32_e32 v13, vcc, v12, v3
	v_addc_co_u32_e32 v14, vcc, 0, v4, vcc
	v_mad_u64_u32 v[3:4], s[0:1], v10, v8, 0
	v_mad_u64_u32 v[11:12], s[0:1], v10, v11, 0
	v_add_co_u32_e32 v3, vcc, v13, v3
	v_addc_co_u32_e32 v3, vcc, v14, v4, vcc
	v_addc_co_u32_e32 v4, vcc, 0, v12, vcc
	v_add_co_u32_e32 v8, vcc, v3, v11
	v_addc_co_u32_e32 v11, vcc, 0, v4, vcc
	v_mul_lo_u32 v12, s25, v8
	v_mul_lo_u32 v13, s24, v11
	v_mad_u64_u32 v[3:4], s[0:1], s24, v8, 0
	v_add3_u32 v4, v4, v13, v12
	v_sub_u32_e32 v12, v10, v4
	v_mov_b32_e32 v13, s25
	v_sub_co_u32_e32 v3, vcc, v9, v3
	v_subb_co_u32_e64 v12, s[0:1], v12, v13, vcc
	v_subrev_co_u32_e64 v13, s[0:1], s24, v3
	v_subbrev_co_u32_e64 v12, s[0:1], 0, v12, s[0:1]
	v_cmp_le_u32_e64 s[0:1], s25, v12
	v_cndmask_b32_e64 v14, 0, -1, s[0:1]
	v_cmp_le_u32_e64 s[0:1], s24, v13
	v_cndmask_b32_e64 v13, 0, -1, s[0:1]
	v_cmp_eq_u32_e64 s[0:1], s25, v12
	v_cndmask_b32_e64 v12, v14, v13, s[0:1]
	v_add_co_u32_e64 v13, s[0:1], 2, v8
	v_addc_co_u32_e64 v14, s[0:1], 0, v11, s[0:1]
	v_add_co_u32_e64 v15, s[0:1], 1, v8
	v_addc_co_u32_e64 v16, s[0:1], 0, v11, s[0:1]
	v_subb_co_u32_e32 v4, vcc, v10, v4, vcc
	v_cmp_ne_u32_e64 s[0:1], 0, v12
	v_cmp_le_u32_e32 vcc, s25, v4
	v_cndmask_b32_e64 v12, v16, v14, s[0:1]
	v_cndmask_b32_e64 v14, 0, -1, vcc
	v_cmp_le_u32_e32 vcc, s24, v3
	v_cndmask_b32_e64 v3, 0, -1, vcc
	v_cmp_eq_u32_e32 vcc, s25, v4
	v_cndmask_b32_e32 v3, v14, v3, vcc
	v_cmp_ne_u32_e32 vcc, 0, v3
	v_cndmask_b32_e64 v3, v15, v13, s[0:1]
	v_cndmask_b32_e32 v4, v11, v12, vcc
	v_cndmask_b32_e32 v3, v8, v3, vcc
.LBB0_4:                                ;   in Loop: Header=BB0_2 Depth=1
	s_andn2_saveexec_b64 s[0:1], s[26:27]
	s_cbranch_execz .LBB0_6
; %bb.5:                                ;   in Loop: Header=BB0_2 Depth=1
	v_cvt_f32_u32_e32 v3, s24
	s_sub_i32 s26, 0, s24
	v_rcp_iflag_f32_e32 v3, v3
	v_mul_f32_e32 v3, 0x4f7ffffe, v3
	v_cvt_u32_f32_e32 v3, v3
	v_mul_lo_u32 v4, s26, v3
	v_mul_hi_u32 v4, v3, v4
	v_add_u32_e32 v3, v3, v4
	v_mul_hi_u32 v3, v9, v3
	v_mul_lo_u32 v4, v3, s24
	v_add_u32_e32 v8, 1, v3
	v_sub_u32_e32 v4, v9, v4
	v_subrev_u32_e32 v11, s24, v4
	v_cmp_le_u32_e32 vcc, s24, v4
	v_cndmask_b32_e32 v4, v4, v11, vcc
	v_cndmask_b32_e32 v3, v3, v8, vcc
	v_add_u32_e32 v8, 1, v3
	v_cmp_le_u32_e32 vcc, s24, v4
	v_cndmask_b32_e32 v3, v3, v8, vcc
	v_mov_b32_e32 v4, v7
.LBB0_6:                                ;   in Loop: Header=BB0_2 Depth=1
	s_or_b64 exec, exec, s[0:1]
	v_mul_lo_u32 v8, v4, s24
	v_mul_lo_u32 v13, v3, s25
	v_mad_u64_u32 v[11:12], s[0:1], v3, s24, 0
	s_load_dwordx2 s[0:1], s[6:7], 0x0
	s_load_dwordx2 s[24:25], s[2:3], 0x0
	v_add3_u32 v8, v12, v13, v8
	v_sub_co_u32_e32 v9, vcc, v9, v11
	v_subb_co_u32_e32 v8, vcc, v10, v8, vcc
	s_waitcnt lgkmcnt(0)
	v_mul_lo_u32 v10, s0, v8
	v_mul_lo_u32 v11, s1, v9
	v_mad_u64_u32 v[5:6], s[0:1], s0, v9, v[5:6]
	v_mul_lo_u32 v8, s24, v8
	v_mul_lo_u32 v12, s25, v9
	v_mad_u64_u32 v[1:2], s[0:1], s24, v9, v[1:2]
	s_add_u32 s22, s22, 1
	s_addc_u32 s23, s23, 0
	s_add_u32 s2, s2, 8
	v_add3_u32 v2, v12, v2, v8
	s_addc_u32 s3, s3, 0
	v_mov_b32_e32 v8, s10
	s_add_u32 s6, s6, 8
	v_mov_b32_e32 v9, s11
	s_addc_u32 s7, s7, 0
	v_cmp_ge_u64_e32 vcc, s[22:23], v[8:9]
	s_add_u32 s20, s20, 8
	v_add3_u32 v6, v11, v6, v10
	s_addc_u32 s21, s21, 0
	s_cbranch_vccnz .LBB0_9
; %bb.7:                                ;   in Loop: Header=BB0_2 Depth=1
	v_mov_b32_e32 v10, v4
	v_mov_b32_e32 v9, v3
	s_branch .LBB0_2
.LBB0_8:
	v_mov_b32_e32 v1, v5
	v_mov_b32_e32 v3, v9
	;; [unrolled: 1-line block ×4, first 2 shown]
.LBB0_9:
	s_load_dwordx2 s[4:5], s[4:5], 0x28
	s_lshl_b64 s[6:7], s[10:11], 3
	s_add_u32 s2, s18, s6
	s_addc_u32 s3, s19, s7
                                        ; implicit-def: $vgpr35
	s_waitcnt lgkmcnt(0)
	v_cmp_gt_u64_e64 s[0:1], s[4:5], v[3:4]
	v_cmp_le_u64_e32 vcc, s[4:5], v[3:4]
	s_and_saveexec_b64 s[4:5], vcc
	s_xor_b64 s[4:5], exec, s[4:5]
; %bb.10:
	s_mov_b32 s10, 0x1948b10
	v_mul_hi_u32 v5, v0, s10
	v_mul_u32_u24_e32 v5, 0xa2, v5
	v_sub_u32_e32 v35, v0, v5
                                        ; implicit-def: $vgpr0
                                        ; implicit-def: $vgpr5_vgpr6
; %bb.11:
	s_or_saveexec_b64 s[4:5], s[4:5]
                                        ; implicit-def: $vgpr20
                                        ; implicit-def: $vgpr26
                                        ; implicit-def: $vgpr18
                                        ; implicit-def: $vgpr22
                                        ; implicit-def: $vgpr16
                                        ; implicit-def: $vgpr24
                                        ; implicit-def: $vgpr12
                                        ; implicit-def: $vgpr14
                                        ; implicit-def: $vgpr10
                                        ; implicit-def: $vgpr8
	s_xor_b64 exec, exec, s[4:5]
	s_cbranch_execz .LBB0_13
; %bb.12:
	s_add_u32 s6, s16, s6
	s_addc_u32 s7, s17, s7
	s_load_dwordx2 s[6:7], s[6:7], 0x0
	s_mov_b32 s10, 0x1948b10
	v_mul_hi_u32 v9, v0, s10
	v_lshlrev_b64 v[5:6], 3, v[5:6]
	s_waitcnt lgkmcnt(0)
	v_mul_lo_u32 v10, s7, v3
	v_mul_lo_u32 v11, s6, v4
	v_mad_u64_u32 v[7:8], s[6:7], s6, v3, 0
	v_mul_u32_u24_e32 v9, 0xa2, v9
	v_sub_u32_e32 v35, v0, v9
	v_add3_u32 v8, v8, v11, v10
	v_lshlrev_b64 v[7:8], 3, v[7:8]
	v_mov_b32_e32 v0, s13
	v_add_co_u32_e32 v7, vcc, s12, v7
	v_addc_co_u32_e32 v0, vcc, v0, v8, vcc
	v_add_co_u32_e32 v5, vcc, v7, v5
	v_addc_co_u32_e32 v0, vcc, v0, v6, vcc
	v_lshlrev_b32_e32 v6, 3, v35
	v_add_co_u32_e32 v5, vcc, v5, v6
	v_addc_co_u32_e32 v6, vcc, 0, v0, vcc
	s_movk_i32 s6, 0x1000
	v_add_co_u32_e32 v27, vcc, s6, v5
	v_addc_co_u32_e32 v28, vcc, 0, v6, vcc
	global_load_dwordx2 v[7:8], v[5:6], off
	global_load_dwordx2 v[9:10], v[5:6], off offset:1296
	global_load_dwordx2 v[13:14], v[5:6], off offset:2592
	;; [unrolled: 1-line block ×3, first 2 shown]
	v_add_co_u32_e32 v5, vcc, 0x2000, v5
	v_addc_co_u32_e32 v6, vcc, 0, v6, vcc
	global_load_dwordx2 v[23:24], v[27:28], off offset:1088
	global_load_dwordx2 v[15:16], v[27:28], off offset:2384
	;; [unrolled: 1-line block ×6, first 2 shown]
.LBB0_13:
	s_or_b64 exec, exec, s[4:5]
	s_waitcnt vmcnt(5)
	v_sub_f32_e32 v5, v13, v23
	s_waitcnt vmcnt(1)
	v_sub_f32_e32 v6, v25, v21
	v_add_f32_e32 v29, v6, v5
	v_add_f32_e32 v5, v21, v23
	v_fma_f32 v30, -0.5, v5, v7
	v_add_f32_e32 v5, v25, v13
	v_add_f32_e32 v0, v13, v7
	v_fmac_f32_e32 v7, -0.5, v5
	v_sub_f32_e32 v31, v24, v22
	v_mov_b32_e32 v32, v7
	v_sub_f32_e32 v5, v23, v13
	v_sub_f32_e32 v6, v21, v25
	v_fmac_f32_e32 v32, 0x3f737871, v31
	v_sub_f32_e32 v33, v14, v26
	v_fmac_f32_e32 v7, 0xbf737871, v31
	v_add_f32_e32 v5, v6, v5
	v_fmac_f32_e32 v32, 0xbf167918, v33
	v_fmac_f32_e32 v7, 0x3f167918, v33
	;; [unrolled: 1-line block ×4, first 2 shown]
	v_sub_f32_e32 v5, v11, v15
	s_waitcnt vmcnt(0)
	v_sub_f32_e32 v6, v19, v17
	v_add_f32_e32 v34, v6, v5
	v_add_f32_e32 v5, v17, v15
	;; [unrolled: 1-line block ×3, first 2 shown]
	v_fma_f32 v36, -0.5, v5, v9
	v_add_f32_e32 v5, v11, v9
	v_fmac_f32_e32 v9, -0.5, v6
	v_sub_f32_e32 v42, v16, v18
	v_mov_b32_e32 v37, v9
	v_sub_f32_e32 v6, v15, v11
	v_sub_f32_e32 v27, v17, v19
	v_fmac_f32_e32 v37, 0x3f737871, v42
	v_sub_f32_e32 v43, v12, v20
	v_fmac_f32_e32 v9, 0xbf737871, v42
	v_add_f32_e32 v6, v27, v6
	v_fmac_f32_e32 v37, 0xbf167918, v43
	v_fmac_f32_e32 v9, 0x3f167918, v43
	;; [unrolled: 1-line block ×4, first 2 shown]
	v_sub_f32_e32 v6, v12, v16
	v_sub_f32_e32 v27, v20, v18
	v_add_f32_e32 v5, v15, v5
	v_add_f32_e32 v44, v27, v6
	v_sub_f32_e32 v6, v16, v12
	v_sub_f32_e32 v27, v18, v20
	v_add_f32_e32 v5, v17, v5
	v_add_f32_e32 v6, v27, v6
	v_add_f32_e32 v27, v20, v12
	v_sub_f32_e32 v45, v15, v17
	v_add_f32_e32 v17, v19, v5
	v_add_f32_e32 v5, v18, v16
	v_fma_f32 v38, -0.5, v27, v10
	v_sub_f32_e32 v46, v11, v19
	v_fma_f32 v11, -0.5, v5, v10
	v_mov_b32_e32 v39, v38
	v_mov_b32_e32 v41, v11
	v_fmac_f32_e32 v39, 0xbf737871, v45
	v_fmac_f32_e32 v38, 0x3f737871, v45
	v_mov_b32_e32 v15, v36
	v_fmac_f32_e32 v41, 0x3f737871, v46
	v_fmac_f32_e32 v39, 0x3f167918, v46
	;; [unrolled: 1-line block ×3, first 2 shown]
	v_mov_b32_e32 v47, v30
	v_fmac_f32_e32 v15, 0xbf737871, v43
	v_fmac_f32_e32 v41, 0x3f167918, v45
	;; [unrolled: 1-line block ×4, first 2 shown]
	v_add_f32_e32 v0, v23, v0
	v_fmac_f32_e32 v47, 0xbf737871, v33
	v_fmac_f32_e32 v15, 0xbf167918, v42
	;; [unrolled: 1-line block ×3, first 2 shown]
	v_add_f32_e32 v0, v21, v0
	v_fmac_f32_e32 v47, 0xbf167918, v31
	v_fmac_f32_e32 v15, 0x3e9e377a, v34
	v_mul_f32_e32 v19, 0xbf167918, v41
	v_mul_f32_e32 v48, 0xbf737871, v39
	;; [unrolled: 1-line block ×3, first 2 shown]
	v_fmac_f32_e32 v11, 0xbf737871, v46
	v_add_f32_e32 v0, v25, v0
	v_fmac_f32_e32 v47, 0x3e9e377a, v29
	v_fmac_f32_e32 v19, 0x3f4f1bbd, v15
	v_fmac_f32_e32 v48, 0x3e9e377a, v37
	v_fmac_f32_e32 v49, 0xbe9e377a, v9
	v_mul_u32_u24_e32 v40, 10, v35
	v_fmac_f32_e32 v36, 0x3f737871, v43
	v_fmac_f32_e32 v11, 0xbf167918, v45
	v_add_f32_e32 v5, v17, v0
	v_add_f32_e32 v6, v47, v19
	;; [unrolled: 1-line block ×4, first 2 shown]
	v_lshl_add_u32 v40, v40, 2, 0
	v_fmac_f32_e32 v30, 0x3f737871, v33
	v_fmac_f32_e32 v36, 0x3f167918, v42
	;; [unrolled: 1-line block ×3, first 2 shown]
	ds_write2_b64 v40, v[5:6], v[27:28] offset1:1
	v_sub_f32_e32 v5, v47, v19
	v_fmac_f32_e32 v30, 0x3f167918, v31
	v_fmac_f32_e32 v36, 0x3e9e377a, v34
	v_mul_f32_e32 v19, 0xbf167918, v11
	v_fmac_f32_e32 v30, 0x3e9e377a, v29
	v_fmac_f32_e32 v19, 0xbf4f1bbd, v36
	v_sub_f32_e32 v6, v32, v48
	v_sub_f32_e32 v28, v0, v17
	v_add_f32_e32 v27, v30, v19
	s_load_dwordx2 s[6:7], s[2:3], 0x0
	s_movk_i32 s2, 0xffdc
	ds_write2_b64 v40, v[27:28], v[5:6] offset0:2 offset1:3
	v_sub_f32_e32 v6, v30, v19
	v_sub_f32_e32 v5, v7, v49
	v_mad_i32_i24 v0, v35, s2, v40
	ds_write_b64 v40, v[5:6] offset:32
	s_waitcnt lgkmcnt(0)
	s_barrier
	v_add_u32_e32 v7, 0x500, v0
	v_add_u32_e32 v43, 0x1000, v0
	;; [unrolled: 1-line block ×3, first 2 shown]
	ds_read_b32 v5, v0 offset:5616
	ds_read2_b32 v[29:30], v0 offset1:162
	ds_read2_b32 v[27:28], v7 offset0:4 offset1:220
	ds_read2_b32 v[33:34], v43 offset0:56 offset1:218
	;; [unrolled: 1-line block ×3, first 2 shown]
	s_mov_b32 s11, 0x3f737871
	s_mov_b32 s10, 0x3f167918
	v_cmp_gt_u32_e64 s[2:3], 54, v35
                                        ; implicit-def: $vgpr17
                                        ; implicit-def: $vgpr19
	s_and_saveexec_b64 s[4:5], s[2:3]
	s_cbranch_execz .LBB0_15
; %bb.14:
	ds_read_b32 v6, v0 offset:1944
	ds_read_b32 v19, v0 offset:4104
	;; [unrolled: 1-line block ×3, first 2 shown]
.LBB0_15:
	s_or_b64 exec, exec, s[4:5]
	v_add_f32_e32 v45, v22, v24
	v_fma_f32 v45, -0.5, v45, v8
	v_sub_f32_e32 v13, v13, v25
	v_mov_b32_e32 v25, v45
	v_fmac_f32_e32 v25, 0x3f737871, v13
	v_sub_f32_e32 v21, v23, v21
	v_sub_f32_e32 v23, v14, v24
	;; [unrolled: 1-line block ×3, first 2 shown]
	v_fmac_f32_e32 v45, 0xbf737871, v13
	v_fmac_f32_e32 v25, 0x3f167918, v21
	v_add_f32_e32 v23, v46, v23
	v_fmac_f32_e32 v45, 0xbf167918, v21
	v_fmac_f32_e32 v25, 0x3e9e377a, v23
	;; [unrolled: 1-line block ×3, first 2 shown]
	v_add_f32_e32 v23, v26, v14
	v_add_f32_e32 v10, v12, v10
	;; [unrolled: 1-line block ×3, first 2 shown]
	v_fmac_f32_e32 v8, -0.5, v23
	v_add_f32_e32 v10, v16, v10
	v_add_f32_e32 v44, v24, v44
	v_mov_b32_e32 v23, v8
	v_add_f32_e32 v10, v18, v10
	v_add_f32_e32 v44, v22, v44
	v_fmac_f32_e32 v23, 0xbf737871, v21
	v_sub_f32_e32 v14, v24, v14
	v_sub_f32_e32 v22, v22, v26
	v_fmac_f32_e32 v8, 0x3f737871, v21
	v_add_f32_e32 v16, v20, v10
	v_mul_f32_e32 v10, 0x3e9e377a, v38
	v_fmac_f32_e32 v23, 0x3f167918, v13
	v_add_f32_e32 v14, v22, v14
	v_fmac_f32_e32 v8, 0xbf167918, v13
	v_mul_f32_e32 v18, 0x3f167918, v15
	v_mul_f32_e32 v21, 0x3f737871, v37
	v_fma_f32 v9, v9, s11, -v10
	v_mul_f32_e32 v10, 0x3f4f1bbd, v11
	v_add_f32_e32 v44, v26, v44
	v_fmac_f32_e32 v23, 0x3e9e377a, v14
	v_fmac_f32_e32 v8, 0x3e9e377a, v14
	;; [unrolled: 1-line block ×4, first 2 shown]
	v_fma_f32 v22, v36, s10, -v10
	v_add_f32_e32 v12, v16, v44
	v_add_f32_e32 v13, v25, v18
	;; [unrolled: 1-line block ×5, first 2 shown]
	v_sub_f32_e32 v11, v44, v16
	v_sub_f32_e32 v8, v8, v9
	;; [unrolled: 1-line block ×5, first 2 shown]
	s_waitcnt lgkmcnt(0)
	s_barrier
	ds_write2_b64 v40, v[12:13], v[14:15] offset1:1
	ds_write2_b64 v40, v[10:11], v[20:21] offset0:2 offset1:3
	ds_write_b64 v40, v[8:9] offset:32
	s_waitcnt lgkmcnt(0)
	s_barrier
	ds_read2_b32 v[12:13], v0 offset1:162
	ds_read2_b32 v[10:11], v7 offset0:4 offset1:220
	ds_read2_b32 v[14:15], v43 offset0:56 offset1:218
	;; [unrolled: 1-line block ×3, first 2 shown]
	ds_read_b32 v16, v0 offset:5616
                                        ; implicit-def: $vgpr18
                                        ; implicit-def: $vgpr43
	s_and_saveexec_b64 s[4:5], s[2:3]
	s_cbranch_execz .LBB0_17
; %bb.16:
	ds_read_b32 v9, v0 offset:1944
	ds_read_b32 v43, v0 offset:4104
	;; [unrolled: 1-line block ×3, first 2 shown]
.LBB0_17:
	s_or_b64 exec, exec, s[4:5]
	s_movk_i32 s4, 0xcd
	v_add_u32_e32 v26, 0xa2, v35
	v_mul_lo_u16_sdwa v20, v35, s4 dst_sel:DWORD dst_unused:UNUSED_PAD src0_sel:BYTE_0 src1_sel:DWORD
	s_mov_b32 s4, 0xcccd
	v_lshrrev_b16_e32 v56, 11, v20
	v_mul_u32_u24_sdwa v21, v26, s4 dst_sel:DWORD dst_unused:UNUSED_PAD src0_sel:WORD_0 src1_sel:DWORD
	v_mul_lo_u16_e32 v20, 10, v56
	v_lshrrev_b32_e32 v58, 19, v21
	v_sub_u16_e32 v57, v35, v20
	v_mov_b32_e32 v20, 4
	v_mul_lo_u16_e32 v21, 10, v58
	v_lshlrev_b32_sdwa v20, v20, v57 dst_sel:DWORD dst_unused:UNUSED_PAD src0_sel:DWORD src1_sel:BYTE_0
	v_sub_u16_e32 v59, v26, v21
	v_add_u32_e32 v36, 0x144, v35
	global_load_dwordx4 v[21:24], v20, s[8:9]
	v_lshlrev_b32_e32 v20, 4, v59
	global_load_dwordx4 v[44:47], v20, s[8:9]
	v_mul_u32_u24_sdwa v20, v36, s4 dst_sel:DWORD dst_unused:UNUSED_PAD src0_sel:WORD_0 src1_sel:DWORD
	v_lshrrev_b32_e32 v60, 19, v20
	v_mul_lo_u16_e32 v20, 10, v60
	v_sub_u16_e32 v61, v36, v20
	v_lshlrev_b32_e32 v20, 4, v61
	v_add_u32_e32 v25, 0x1e6, v35
	global_load_dwordx4 v[48:51], v20, s[8:9]
	v_mul_u32_u24_sdwa v20, v25, s4 dst_sel:DWORD dst_unused:UNUSED_PAD src0_sel:WORD_0 src1_sel:DWORD
	v_lshrrev_b32_e32 v62, 19, v20
	v_mul_lo_u16_e32 v20, 10, v62
	v_sub_u16_e32 v63, v25, v20
	v_lshlrev_b32_e32 v20, 4, v63
	global_load_dwordx4 v[52:55], v20, s[8:9]
	s_waitcnt vmcnt(0) lgkmcnt(0)
	s_barrier
	v_mul_f32_e32 v37, v11, v22
	v_mul_f32_e32 v39, v28, v22
	;; [unrolled: 1-line block ×7, first 2 shown]
	v_fmac_f32_e32 v38, v33, v23
	v_fma_f32 v40, v14, v23, -v40
	v_mul_f32_e32 v20, v8, v49
	v_mul_f32_e32 v23, v16, v51
	v_fmac_f32_e32 v24, v34, v46
	v_fmac_f32_e32 v22, v31, v44
	v_mul_f32_e32 v41, v31, v45
	v_fmac_f32_e32 v37, v28, v21
	v_mul_f32_e32 v14, v5, v51
	v_mul_f32_e32 v47, v17, v55
	v_fma_f32 v42, v15, v46, -v42
	v_fmac_f32_e32 v20, v32, v48
	v_fmac_f32_e32 v23, v5, v50
	v_add_f32_e32 v15, v22, v24
	v_mul_f32_e32 v45, v32, v49
	v_fma_f32 v39, v11, v21, -v39
	v_mul_f32_e32 v21, v18, v55
	v_fma_f32 v41, v7, v44, -v41
	v_fma_f32 v34, v16, v50, -v14
	;; [unrolled: 1-line block ×3, first 2 shown]
	v_add_f32_e32 v7, v37, v38
	v_add_f32_e32 v14, v30, v22
	;; [unrolled: 1-line block ×3, first 2 shown]
	v_fmac_f32_e32 v30, -0.5, v15
	v_mul_f32_e32 v11, v43, v53
	v_fmac_f32_e32 v21, v17, v54
	v_sub_f32_e32 v16, v41, v42
	v_add_f32_e32 v17, v27, v20
	v_fma_f32 v7, -0.5, v7, v29
	v_fmac_f32_e32 v27, -0.5, v18
	v_mov_b32_e32 v18, v30
	v_mul_f32_e32 v28, v19, v53
	v_fma_f32 v33, v8, v48, -v45
	v_fmac_f32_e32 v11, v19, v52
	v_sub_f32_e32 v8, v39, v40
	v_add_f32_e32 v15, v17, v23
	v_mov_b32_e32 v17, v7
	v_fmac_f32_e32 v30, 0x3f5db3d7, v16
	v_fmac_f32_e32 v18, 0xbf5db3d7, v16
	v_mov_b32_e32 v16, 2
	v_fma_f32 v31, v43, v52, -v28
	v_add_f32_e32 v5, v29, v37
	v_add_f32_e32 v43, v11, v21
	v_fmac_f32_e32 v7, 0x3f5db3d7, v8
	v_fmac_f32_e32 v17, 0xbf5db3d7, v8
	v_mul_u32_u24_e32 v8, 0x78, v56
	v_lshlrev_b32_sdwa v16, v16, v57 dst_sel:DWORD dst_unused:UNUSED_PAD src0_sel:DWORD src1_sel:BYTE_0
	v_add_f32_e32 v28, v6, v11
	v_add_f32_e32 v45, v5, v38
	v_fmac_f32_e32 v6, -0.5, v43
	v_add3_u32 v43, 0, v8, v16
	ds_write2_b32 v43, v45, v17 offset1:10
	ds_write_b32 v43, v7 offset:80
	v_mul_u32_u24_e32 v7, 0x78, v58
	v_lshlrev_b32_e32 v8, 2, v59
	v_sub_f32_e32 v19, v33, v34
	v_sub_f32_e32 v44, v31, v32
	v_add_f32_e32 v14, v14, v24
	v_add_f32_e32 v5, v28, v21
	v_mov_b32_e32 v29, v27
	v_mov_b32_e32 v28, v6
	v_add3_u32 v45, 0, v7, v8
	v_mul_u32_u24_e32 v7, 0x78, v60
	v_lshlrev_b32_e32 v8, 2, v61
	v_fmac_f32_e32 v29, 0xbf5db3d7, v19
	v_fmac_f32_e32 v28, 0xbf5db3d7, v44
	;; [unrolled: 1-line block ×3, first 2 shown]
	ds_write2_b32 v45, v14, v18 offset1:10
	ds_write_b32 v45, v30 offset:80
	v_add3_u32 v46, 0, v7, v8
	v_mul_lo_u16_e32 v30, 30, v62
	v_lshlrev_b32_e32 v44, 2, v63
	v_fmac_f32_e32 v27, 0x3f5db3d7, v19
	ds_write2_b32 v46, v15, v29 offset1:10
	ds_write_b32 v46, v27 offset:80
	s_and_saveexec_b64 s[4:5], s[2:3]
	s_cbranch_execz .LBB0_19
; %bb.18:
	v_lshlrev_b32_e32 v7, 2, v30
	v_add3_u32 v7, 0, v44, v7
	ds_write2_b32 v7, v5, v28 offset1:10
	ds_write_b32 v7, v6 offset:80
.LBB0_19:
	s_or_b64 exec, exec, s[4:5]
	v_add_u32_e32 v16, 0x1000, v0
	s_waitcnt lgkmcnt(0)
	s_barrier
	v_add_u32_e32 v7, 0x500, v0
	ds_read2_b32 v[18:19], v16 offset0:56 offset1:218
	v_add_u32_e32 v16, 0xa00, v0
	ds_read2_b32 v[14:15], v0 offset1:162
	ds_read2_b32 v[7:8], v7 offset0:4 offset1:220
	ds_read2_b32 v[16:17], v16 offset0:62 offset1:224
	ds_read_b32 v29, v0 offset:5616
	v_lshl_add_u32 v27, v35, 2, 0
	s_and_saveexec_b64 s[4:5], s[2:3]
	s_cbranch_execz .LBB0_21
; %bb.20:
	ds_read_b32 v28, v0 offset:4104
	ds_read_b32 v5, v27 offset:1944
	;; [unrolled: 1-line block ×3, first 2 shown]
.LBB0_21:
	s_or_b64 exec, exec, s[4:5]
	v_add_f32_e32 v47, v12, v39
	v_add_f32_e32 v39, v39, v40
	v_fma_f32 v12, -0.5, v39, v12
	v_sub_f32_e32 v37, v37, v38
	v_mov_b32_e32 v38, v12
	v_add_f32_e32 v39, v41, v42
	v_fmac_f32_e32 v38, 0x3f5db3d7, v37
	v_fmac_f32_e32 v12, 0xbf5db3d7, v37
	v_add_f32_e32 v37, v13, v41
	v_fmac_f32_e32 v13, -0.5, v39
	v_sub_f32_e32 v22, v22, v24
	v_mov_b32_e32 v39, v13
	v_add_f32_e32 v24, v33, v34
	v_fmac_f32_e32 v39, 0x3f5db3d7, v22
	v_fmac_f32_e32 v13, 0xbf5db3d7, v22
	v_add_f32_e32 v22, v10, v33
	v_fmac_f32_e32 v10, -0.5, v24
	v_sub_f32_e32 v20, v20, v23
	v_mov_b32_e32 v23, v10
	v_fmac_f32_e32 v23, 0x3f5db3d7, v20
	v_fmac_f32_e32 v10, 0xbf5db3d7, v20
	v_add_f32_e32 v20, v9, v31
	v_add_f32_e32 v24, v20, v32
	;; [unrolled: 1-line block ×3, first 2 shown]
	v_fmac_f32_e32 v9, -0.5, v20
	v_sub_f32_e32 v11, v11, v21
	v_mov_b32_e32 v31, v9
	v_add_f32_e32 v47, v47, v40
	v_fmac_f32_e32 v31, 0x3f5db3d7, v11
	v_fmac_f32_e32 v9, 0xbf5db3d7, v11
	v_add_f32_e32 v37, v37, v42
	v_add_f32_e32 v22, v22, v34
	s_waitcnt lgkmcnt(0)
	s_barrier
	ds_write2_b32 v43, v47, v38 offset1:10
	ds_write_b32 v43, v12 offset:80
	ds_write2_b32 v45, v37, v39 offset1:10
	ds_write_b32 v45, v13 offset:80
	ds_write2_b32 v46, v22, v23 offset1:10
	ds_write_b32 v46, v10 offset:80
	s_and_saveexec_b64 s[4:5], s[2:3]
	s_cbranch_execz .LBB0_23
; %bb.22:
	v_lshlrev_b32_e32 v10, 2, v30
	v_add3_u32 v10, 0, v44, v10
	ds_write2_b32 v10, v24, v31 offset1:10
	ds_write_b32 v10, v9 offset:80
.LBB0_23:
	s_or_b64 exec, exec, s[4:5]
	v_add_u32_e32 v20, 0x1000, v0
	s_waitcnt lgkmcnt(0)
	s_barrier
	v_add_u32_e32 v10, 0x500, v0
	ds_read2_b32 v[22:23], v20 offset0:56 offset1:218
	v_add_u32_e32 v20, 0xa00, v0
	ds_read2_b32 v[12:13], v0 offset1:162
	ds_read2_b32 v[10:11], v10 offset0:4 offset1:220
	ds_read2_b32 v[20:21], v20 offset0:62 offset1:224
	ds_read_b32 v32, v0 offset:5616
	s_and_saveexec_b64 s[4:5], s[2:3]
	s_cbranch_execz .LBB0_25
; %bb.24:
	ds_read_b32 v31, v0 offset:4104
	ds_read_b32 v24, v27 offset:1944
	;; [unrolled: 1-line block ×3, first 2 shown]
.LBB0_25:
	s_or_b64 exec, exec, s[4:5]
	s_movk_i32 s4, 0x89
	v_mul_lo_u16_sdwa v30, v35, s4 dst_sel:DWORD dst_unused:UNUSED_PAD src0_sel:BYTE_0 src1_sel:DWORD
	s_mov_b32 s4, 0x8889
	v_lshrrev_b16_e32 v57, 12, v30
	v_mul_u32_u24_sdwa v33, v26, s4 dst_sel:DWORD dst_unused:UNUSED_PAD src0_sel:WORD_0 src1_sel:DWORD
	v_mul_lo_u16_e32 v30, 30, v57
	v_lshrrev_b32_e32 v59, 20, v33
	v_sub_u16_e32 v58, v35, v30
	v_mov_b32_e32 v30, 4
	v_mul_lo_u16_e32 v33, 30, v59
	v_lshlrev_b32_sdwa v30, v30, v58 dst_sel:DWORD dst_unused:UNUSED_PAD src0_sel:DWORD src1_sel:BYTE_0
	v_sub_u16_e32 v60, v26, v33
	global_load_dwordx4 v[41:44], v30, s[8:9] offset:160
	v_lshlrev_b32_e32 v30, 4, v60
	global_load_dwordx4 v[45:48], v30, s[8:9] offset:160
	v_mul_u32_u24_sdwa v30, v36, s4 dst_sel:DWORD dst_unused:UNUSED_PAD src0_sel:WORD_0 src1_sel:DWORD
	v_lshrrev_b32_e32 v61, 20, v30
	v_mul_lo_u16_e32 v30, 30, v61
	v_sub_u16_e32 v62, v36, v30
	v_lshlrev_b32_e32 v30, 4, v62
	global_load_dwordx4 v[49:52], v30, s[8:9] offset:160
	v_mul_u32_u24_sdwa v30, v25, s4 dst_sel:DWORD dst_unused:UNUSED_PAD src0_sel:WORD_0 src1_sel:DWORD
	v_lshrrev_b32_e32 v30, 20, v30
	v_mul_lo_u16_e32 v33, 30, v30
	v_sub_u16_e32 v63, v25, v33
	v_lshlrev_b32_e32 v33, 4, v63
	global_load_dwordx4 v[53:56], v33, s[8:9] offset:160
	s_waitcnt vmcnt(0) lgkmcnt(0)
	s_barrier
	v_mul_f32_e32 v39, v11, v42
	v_mul_f32_e32 v37, v8, v42
	;; [unrolled: 1-line block ×9, first 2 shown]
	v_fmac_f32_e32 v39, v8, v41
	v_fma_f32 v8, v11, v41, -v37
	v_mul_f32_e32 v37, v32, v52
	v_fmac_f32_e32 v38, v19, v47
	v_fmac_f32_e32 v34, v16, v45
	;; [unrolled: 1-line block ×3, first 2 shown]
	v_fma_f32 v43, v22, v43, -v42
	v_mul_f32_e32 v11, v17, v50
	v_mul_f32_e32 v18, v31, v54
	v_fma_f32 v42, v23, v47, -v46
	v_mul_f32_e32 v23, v6, v56
	v_fmac_f32_e32 v33, v17, v49
	v_fmac_f32_e32 v37, v29, v51
	v_add_f32_e32 v16, v34, v38
	v_mul_f32_e32 v19, v28, v54
	v_mul_f32_e32 v22, v9, v56
	v_fma_f32 v44, v20, v45, -v44
	v_fma_f32 v41, v21, v49, -v11
	v_fmac_f32_e32 v18, v28, v53
	v_fma_f32 v20, v9, v55, -v23
	v_add_f32_e32 v9, v39, v40
	v_add_f32_e32 v11, v15, v34
	;; [unrolled: 1-line block ×3, first 2 shown]
	v_fmac_f32_e32 v15, -0.5, v16
	v_mul_f32_e32 v48, v29, v52
	v_fmac_f32_e32 v22, v6, v55
	v_add_f32_e32 v6, v14, v39
	v_sub_f32_e32 v21, v44, v42
	v_add_f32_e32 v23, v7, v33
	v_fma_f32 v9, -0.5, v9, v14
	v_fmac_f32_e32 v7, -0.5, v28
	v_mov_b32_e32 v28, v15
	v_fma_f32 v29, v32, v51, -v48
	v_fma_f32 v17, v31, v53, -v19
	v_sub_f32_e32 v19, v8, v43
	v_add_f32_e32 v47, v6, v40
	v_add_f32_e32 v6, v23, v37
	v_mov_b32_e32 v23, v9
	v_fmac_f32_e32 v15, 0x3f5db3d7, v21
	v_fmac_f32_e32 v28, 0xbf5db3d7, v21
	v_mov_b32_e32 v21, 2
	v_sub_f32_e32 v31, v41, v29
	v_add_f32_e32 v45, v18, v22
	v_fmac_f32_e32 v9, 0x3f5db3d7, v19
	v_mov_b32_e32 v16, v7
	v_fmac_f32_e32 v23, 0xbf5db3d7, v19
	v_mul_u32_u24_e32 v19, 0x168, v57
	v_lshlrev_b32_sdwa v21, v21, v58 dst_sel:DWORD dst_unused:UNUSED_PAD src0_sel:DWORD src1_sel:BYTE_0
	v_add_f32_e32 v32, v5, v18
	v_fmac_f32_e32 v5, -0.5, v45
	v_fmac_f32_e32 v7, 0x3f5db3d7, v31
	v_fmac_f32_e32 v16, 0xbf5db3d7, v31
	v_add3_u32 v31, 0, v19, v21
	v_sub_f32_e32 v46, v17, v20
	v_mov_b32_e32 v14, v5
	ds_write2_b32 v31, v47, v23 offset1:30
	ds_write_b32 v31, v9 offset:240
	v_mul_u32_u24_e32 v9, 0x168, v59
	v_lshlrev_b32_e32 v19, 2, v60
	v_add_f32_e32 v48, v11, v38
	v_fmac_f32_e32 v5, 0x3f5db3d7, v46
	v_fmac_f32_e32 v14, 0xbf5db3d7, v46
	v_add3_u32 v46, 0, v9, v19
	ds_write2_b32 v46, v48, v28 offset1:30
	ds_write_b32 v46, v15 offset:240
	v_mul_u32_u24_e32 v9, 0x168, v61
	v_lshlrev_b32_e32 v15, 2, v62
	v_add_f32_e32 v11, v32, v22
	v_add3_u32 v47, 0, v9, v15
	v_lshlrev_b32_e32 v45, 2, v63
	ds_write2_b32 v47, v6, v16 offset1:30
	ds_write_b32 v47, v7 offset:240
	s_and_saveexec_b64 s[4:5], s[2:3]
	s_cbranch_execz .LBB0_27
; %bb.26:
	v_mul_lo_u16_e32 v9, 0x5a, v30
	v_lshlrev_b32_e32 v9, 2, v9
	v_add3_u32 v9, 0, v45, v9
	ds_write2_b32 v9, v11, v14 offset1:30
	ds_write_b32 v9, v5 offset:240
.LBB0_27:
	s_or_b64 exec, exec, s[4:5]
	s_waitcnt lgkmcnt(0)
	s_barrier
	ds_read_b32 v9, v0
	ds_read_b32 v23, v0 offset:1080
	ds_read_b32 v28, v0 offset:2160
	;; [unrolled: 1-line block ×5, first 2 shown]
	s_movk_i32 s4, 0x6c
	v_cmp_gt_u32_e32 vcc, s4, v35
	s_and_saveexec_b64 s[4:5], vcc
	s_cbranch_execz .LBB0_29
; %bb.28:
	ds_read_b32 v6, v0 offset:648
	ds_read_b32 v16, v0 offset:1728
	ds_read_b32 v7, v0 offset:2808
	ds_read_b32 v11, v0 offset:3888
	ds_read_b32 v14, v0 offset:4968
	ds_read_b32 v5, v0 offset:6048
.LBB0_29:
	s_or_b64 exec, exec, s[4:5]
	v_add_f32_e32 v32, v12, v8
	v_add_f32_e32 v8, v8, v43
	;; [unrolled: 1-line block ×3, first 2 shown]
	v_fma_f32 v43, -0.5, v8, v12
	v_sub_f32_e32 v8, v39, v40
	v_mov_b32_e32 v39, v43
	v_fmac_f32_e32 v39, 0x3f5db3d7, v8
	v_fmac_f32_e32 v43, 0xbf5db3d7, v8
	v_add_f32_e32 v8, v13, v44
	v_add_f32_e32 v40, v8, v42
	;; [unrolled: 1-line block ×3, first 2 shown]
	v_fmac_f32_e32 v13, -0.5, v8
	v_sub_f32_e32 v8, v34, v38
	v_mov_b32_e32 v34, v13
	v_add_f32_e32 v12, v41, v29
	v_fmac_f32_e32 v34, 0x3f5db3d7, v8
	v_fmac_f32_e32 v13, 0xbf5db3d7, v8
	v_add_f32_e32 v8, v10, v41
	v_fmac_f32_e32 v10, -0.5, v12
	v_add_f32_e32 v8, v8, v29
	v_sub_f32_e32 v29, v33, v37
	v_mov_b32_e32 v12, v10
	v_fmac_f32_e32 v12, 0x3f5db3d7, v29
	v_fmac_f32_e32 v10, 0xbf5db3d7, v29
	v_add_f32_e32 v29, v24, v17
	v_add_f32_e32 v17, v17, v20
	v_fmac_f32_e32 v24, -0.5, v17
	v_sub_f32_e32 v17, v18, v22
	v_mov_b32_e32 v32, v24
	v_add_f32_e32 v29, v29, v20
	v_fmac_f32_e32 v32, 0x3f5db3d7, v17
	v_fmac_f32_e32 v24, 0xbf5db3d7, v17
	s_waitcnt lgkmcnt(0)
	s_barrier
	ds_write2_b32 v31, v48, v39 offset1:30
	ds_write_b32 v31, v43 offset:240
	ds_write2_b32 v46, v40, v34 offset1:30
	ds_write_b32 v46, v13 offset:240
	ds_write2_b32 v47, v8, v12 offset1:30
	ds_write_b32 v47, v10 offset:240
	s_and_saveexec_b64 s[4:5], s[2:3]
	s_cbranch_execz .LBB0_31
; %bb.30:
	v_mul_lo_u16_e32 v13, 0x5a, v30
	v_lshlrev_b32_e32 v13, 2, v13
	v_add3_u32 v13, 0, v45, v13
	ds_write2_b32 v13, v29, v32 offset1:30
	ds_write_b32 v13, v24 offset:240
.LBB0_31:
	s_or_b64 exec, exec, s[4:5]
	s_waitcnt lgkmcnt(0)
	s_barrier
	ds_read_b32 v17, v0
	ds_read_b32 v37, v0 offset:1080
	ds_read_b32 v34, v0 offset:2160
	;; [unrolled: 1-line block ×5, first 2 shown]
	s_and_saveexec_b64 s[4:5], vcc
	s_cbranch_execz .LBB0_33
; %bb.32:
	ds_read_b32 v8, v0 offset:648
	ds_read_b32 v12, v0 offset:1728
	;; [unrolled: 1-line block ×6, first 2 shown]
.LBB0_33:
	s_or_b64 exec, exec, s[4:5]
	s_movk_i32 s4, 0x5a
	v_add_u32_e32 v18, 0xffffffa6, v35
	v_cmp_gt_u32_e64 s[4:5], s4, v35
	v_cndmask_b32_e64 v58, v18, v35, s[4:5]
	v_mul_i32_i24_e32 v38, 5, v58
	v_mov_b32_e32 v39, 0
	v_lshlrev_b64 v[38:39], 3, v[38:39]
	v_mov_b32_e32 v18, s9
	v_add_co_u32_e64 v46, s[4:5], s8, v38
	v_addc_co_u32_e64 v47, s[4:5], v18, v39, s[4:5]
	s_movk_i32 s4, 0x2d83
	v_mul_u32_u24_sdwa v18, v26, s4 dst_sel:DWORD dst_unused:UNUSED_PAD src0_sel:WORD_0 src1_sel:DWORD
	v_lshrrev_b32_e32 v18, 20, v18
	v_mul_lo_u16_e32 v20, 0x5a, v18
	v_sub_u16_e32 v59, v26, v20
	global_load_dwordx4 v[38:41], v[46:47], off offset:640
	global_load_dwordx4 v[42:45], v[46:47], off offset:656
	global_load_dwordx2 v[54:55], v[46:47], off offset:672
	v_mul_u32_u24_e32 v20, 5, v59
	v_lshlrev_b32_e32 v20, 3, v20
	global_load_dwordx4 v[46:49], v20, s[8:9] offset:640
	global_load_dwordx4 v[50:53], v20, s[8:9] offset:656
	global_load_dwordx2 v[56:57], v20, s[8:9] offset:672
	s_movk_i32 s4, 0x59
	v_cmp_lt_u32_e64 s[4:5], s4, v35
	s_waitcnt vmcnt(0) lgkmcnt(0)
	s_barrier
	v_mul_f32_e32 v20, v37, v39
	v_mul_f32_e32 v39, v23, v39
	v_mul_f32_e32 v22, v34, v41
	v_mul_f32_e32 v41, v28, v41
	v_mul_f32_e32 v60, v31, v43
	v_mul_f32_e32 v43, v21, v43
	v_mul_f32_e32 v61, v13, v55
	v_mul_f32_e32 v55, v15, v55
	v_mul_f32_e32 v30, v33, v45
	v_fmac_f32_e32 v20, v23, v38
	v_fma_f32 v23, v37, v38, -v39
	v_fma_f32 v37, v34, v40, -v41
	v_fma_f32 v31, v31, v42, -v43
	v_fmac_f32_e32 v61, v15, v54
	v_fma_f32 v34, v13, v54, -v55
	v_mul_f32_e32 v15, v7, v49
	v_mul_f32_e32 v45, v19, v45
	v_fmac_f32_e32 v22, v28, v40
	v_fmac_f32_e32 v60, v21, v42
	;; [unrolled: 1-line block ×3, first 2 shown]
	v_mul_f32_e32 v19, v12, v47
	v_mul_f32_e32 v13, v16, v47
	;; [unrolled: 1-line block ×6, first 2 shown]
	v_fma_f32 v40, v10, v48, -v15
	v_add_f32_e32 v15, v31, v34
	v_fma_f32 v39, v33, v44, -v45
	v_mul_f32_e32 v33, v32, v53
	v_mul_f32_e32 v43, v5, v57
	v_fmac_f32_e32 v19, v16, v46
	v_fma_f32 v38, v12, v46, -v13
	v_fmac_f32_e32 v21, v7, v48
	v_fma_f32 v7, v29, v50, -v41
	v_fma_f32 v41, v32, v52, -v42
	v_fmac_f32_e32 v47, v5, v56
	v_add_f32_e32 v5, v9, v22
	v_add_f32_e32 v10, v22, v30
	v_add_f32_e32 v12, v20, v60
	v_add_f32_e32 v13, v60, v61
	v_sub_f32_e32 v16, v60, v61
	v_fma_f32 v42, -0.5, v15, v23
	v_mul_f32_e32 v28, v29, v51
	v_fmac_f32_e32 v33, v14, v52
	v_sub_f32_e32 v14, v31, v34
	v_add_f32_e32 v5, v5, v30
	v_fmac_f32_e32 v9, -0.5, v10
	v_add_f32_e32 v10, v12, v61
	v_fmac_f32_e32 v20, -0.5, v13
	v_mov_b32_e32 v44, v42
	v_fmac_f32_e32 v42, 0xbf5db3d7, v16
	v_fmac_f32_e32 v28, v11, v50
	v_fma_f32 v24, v24, v56, -v43
	v_sub_f32_e32 v11, v37, v39
	v_mov_b32_e32 v43, v20
	v_fmac_f32_e32 v20, 0x3f5db3d7, v14
	v_add_f32_e32 v15, v5, v10
	v_sub_f32_e32 v32, v5, v10
	v_mul_f32_e32 v5, 0xbf5db3d7, v42
	v_mov_b32_e32 v12, v9
	v_fmac_f32_e32 v9, 0x3f5db3d7, v11
	v_fmac_f32_e32 v5, -0.5, v20
	v_fmac_f32_e32 v43, 0xbf5db3d7, v14
	v_fmac_f32_e32 v44, 0x3f5db3d7, v16
	v_add_f32_e32 v14, v9, v5
	v_sub_f32_e32 v50, v9, v5
	v_add_f32_e32 v5, v6, v21
	v_mul_f32_e32 v10, 0xbf5db3d7, v44
	v_add_f32_e32 v9, v5, v33
	v_add_f32_e32 v5, v21, v33
	v_fmac_f32_e32 v12, 0xbf5db3d7, v11
	v_fmac_f32_e32 v10, 0.5, v43
	v_fmac_f32_e32 v6, -0.5, v5
	v_add_f32_e32 v16, v12, v10
	v_sub_f32_e32 v48, v12, v10
	v_sub_f32_e32 v5, v40, v41
	v_mov_b32_e32 v10, v6
	v_fmac_f32_e32 v10, 0xbf5db3d7, v5
	v_fmac_f32_e32 v6, 0x3f5db3d7, v5
	v_add_f32_e32 v5, v19, v28
	v_add_f32_e32 v11, v5, v47
	;; [unrolled: 1-line block ×3, first 2 shown]
	v_fmac_f32_e32 v19, -0.5, v5
	v_sub_f32_e32 v5, v7, v24
	v_mov_b32_e32 v45, v19
	v_fmac_f32_e32 v45, 0xbf5db3d7, v5
	v_fmac_f32_e32 v19, 0x3f5db3d7, v5
	v_add_f32_e32 v5, v7, v24
	v_fma_f32 v46, -0.5, v5, v38
	v_mov_b32_e32 v49, 0x870
	v_sub_f32_e32 v5, v28, v47
	v_mov_b32_e32 v47, v46
	v_cndmask_b32_e64 v49, 0, v49, s[4:5]
	v_lshlrev_b32_e32 v51, 2, v58
	v_fmac_f32_e32 v47, 0x3f5db3d7, v5
	v_fmac_f32_e32 v46, 0xbf5db3d7, v5
	v_add3_u32 v49, 0, v49, v51
	v_mul_f32_e32 v12, 0xbf5db3d7, v47
	v_mul_f32_e32 v13, 0xbf5db3d7, v46
	ds_write2_b32 v49, v15, v16 offset1:90
	v_add_u32_e32 v15, 0x200, v49
	v_fmac_f32_e32 v12, 0.5, v45
	v_fmac_f32_e32 v13, -0.5, v19
	ds_write2_b32 v15, v14, v32 offset0:52 offset1:142
	v_add_u32_e32 v14, 0x400, v49
	v_sub_f32_e32 v5, v9, v11
	v_sub_f32_e32 v28, v10, v12
	;; [unrolled: 1-line block ×3, first 2 shown]
	ds_write2_b32 v14, v48, v50 offset0:104 offset1:194
	v_lshlrev_b32_e32 v48, 2, v59
	s_and_saveexec_b64 s[4:5], vcc
	s_cbranch_execz .LBB0_35
; %bb.34:
	v_add_f32_e32 v9, v9, v11
	v_mul_lo_u16_e32 v11, 0x21c, v18
	v_lshlrev_b32_e32 v11, 2, v11
	v_add_f32_e32 v10, v10, v12
	v_add3_u32 v11, 0, v48, v11
	v_add_f32_e32 v6, v6, v13
	ds_write2_b32 v11, v9, v10 offset1:90
	v_add_u32_e32 v9, 0x200, v11
	ds_write2_b32 v9, v6, v5 offset0:52 offset1:142
	v_add_u32_e32 v6, 0x400, v11
	ds_write2_b32 v6, v28, v29 offset0:104 offset1:194
.LBB0_35:
	s_or_b64 exec, exec, s[4:5]
	v_add_u32_e32 v6, 0x500, v0
	s_waitcnt lgkmcnt(0)
	s_barrier
	ds_read2_b32 v[13:14], v6 offset0:4 offset1:220
	v_add_u32_e32 v6, 0x1000, v0
	ds_read2_b32 v[11:12], v6 offset0:56 offset1:218
	v_add_u32_e32 v6, 0xa00, v0
	ds_read2_b32 v[9:10], v0 offset1:162
	ds_read2_b32 v[15:16], v6 offset0:62 offset1:224
	ds_read_b32 v32, v0 offset:5616
	s_and_saveexec_b64 s[4:5], s[2:3]
	s_cbranch_execz .LBB0_37
; %bb.36:
	ds_read_b32 v28, v0 offset:4104
	ds_read_b32 v5, v27 offset:1944
	;; [unrolled: 1-line block ×3, first 2 shown]
.LBB0_37:
	s_or_b64 exec, exec, s[4:5]
	v_add_f32_e32 v6, v17, v37
	v_add_f32_e32 v37, v37, v39
	v_fmac_f32_e32 v17, -0.5, v37
	v_sub_f32_e32 v22, v22, v30
	v_mov_b32_e32 v30, v17
	v_fmac_f32_e32 v30, 0x3f5db3d7, v22
	v_fmac_f32_e32 v17, 0xbf5db3d7, v22
	v_add_f32_e32 v22, v23, v31
	v_add_f32_e32 v6, v6, v39
	;; [unrolled: 1-line block ×3, first 2 shown]
	v_mul_f32_e32 v37, -0.5, v42
	v_add_f32_e32 v23, v6, v22
	v_fmac_f32_e32 v37, 0x3f5db3d7, v20
	v_sub_f32_e32 v42, v6, v22
	v_add_f32_e32 v6, v8, v40
	v_add_f32_e32 v39, v17, v37
	v_sub_f32_e32 v37, v17, v37
	v_add_f32_e32 v17, v6, v41
	v_add_f32_e32 v6, v40, v41
	v_fmac_f32_e32 v8, -0.5, v6
	v_sub_f32_e32 v6, v21, v33
	v_mov_b32_e32 v20, v8
	v_mul_f32_e32 v31, 0.5, v44
	v_fmac_f32_e32 v20, 0x3f5db3d7, v6
	v_fmac_f32_e32 v8, 0xbf5db3d7, v6
	v_add_f32_e32 v6, v38, v7
	v_mul_f32_e32 v21, 0.5, v47
	v_mul_f32_e32 v22, -0.5, v46
	v_fmac_f32_e32 v31, 0x3f5db3d7, v43
	v_add_f32_e32 v7, v6, v24
	v_fmac_f32_e32 v21, 0x3f5db3d7, v45
	v_fmac_f32_e32 v22, 0x3f5db3d7, v19
	v_add_u32_e32 v19, 0x200, v49
	v_add_f32_e32 v34, v30, v31
	v_sub_f32_e32 v43, v30, v31
	v_sub_f32_e32 v6, v17, v7
	;; [unrolled: 1-line block ×4, first 2 shown]
	s_waitcnt lgkmcnt(0)
	s_barrier
	ds_write2_b32 v19, v39, v42 offset0:52 offset1:142
	v_add_u32_e32 v19, 0x400, v49
	ds_write2_b32 v49, v23, v34 offset1:90
	ds_write2_b32 v19, v43, v37 offset0:104 offset1:194
	s_and_saveexec_b64 s[4:5], vcc
	s_cbranch_execz .LBB0_39
; %bb.38:
	v_mul_lo_u16_e32 v18, 0x21c, v18
	v_lshlrev_b32_e32 v18, 2, v18
	v_add_f32_e32 v7, v17, v7
	v_add_f32_e32 v17, v20, v21
	v_add3_u32 v18, 0, v48, v18
	v_add_f32_e32 v8, v8, v22
	ds_write2_b32 v18, v7, v17 offset1:90
	v_add_u32_e32 v7, 0x200, v18
	ds_write2_b32 v7, v8, v6 offset0:52 offset1:142
	v_add_u32_e32 v7, 0x400, v18
	ds_write2_b32 v7, v30, v31 offset0:104 offset1:194
.LBB0_39:
	s_or_b64 exec, exec, s[4:5]
	v_add_u32_e32 v7, 0x500, v0
	s_waitcnt lgkmcnt(0)
	s_barrier
	ds_read2_b32 v[21:22], v7 offset0:4 offset1:220
	v_add_u32_e32 v7, 0x1000, v0
	ds_read2_b32 v[19:20], v7 offset0:56 offset1:218
	v_add_u32_e32 v7, 0xa00, v0
	ds_read2_b32 v[17:18], v0 offset1:162
	ds_read2_b32 v[23:24], v7 offset0:62 offset1:224
	ds_read_b32 v33, v0 offset:5616
	s_and_saveexec_b64 s[4:5], s[2:3]
	s_cbranch_execz .LBB0_41
; %bb.40:
	ds_read_b32 v30, v0 offset:4104
	ds_read_b32 v6, v27 offset:1944
	;; [unrolled: 1-line block ×3, first 2 shown]
.LBB0_41:
	s_or_b64 exec, exec, s[4:5]
	s_and_saveexec_b64 s[4:5], s[0:1]
	s_cbranch_execz .LBB0_44
; %bb.42:
	v_lshlrev_b32_e32 v7, 1, v36
	v_mov_b32_e32 v8, 0
	v_lshlrev_b64 v[36:37], 3, v[7:8]
	v_mov_b32_e32 v0, s9
	v_add_co_u32_e32 v7, vcc, s8, v36
	v_addc_co_u32_e32 v27, vcc, v0, v37, vcc
	v_add_co_u32_e32 v36, vcc, 0x1000, v7
	v_lshlrev_b32_e32 v7, 1, v26
	v_addc_co_u32_e32 v37, vcc, 0, v27, vcc
	v_lshlrev_b64 v[26:27], 3, v[7:8]
	s_movk_i32 s4, 0x1000
	v_add_co_u32_e32 v7, vcc, s8, v26
	v_addc_co_u32_e32 v27, vcc, v0, v27, vcc
	v_add_co_u32_e32 v26, vcc, s4, v7
	v_addc_co_u32_e32 v27, vcc, 0, v27, vcc
	v_lshlrev_b32_e32 v7, 1, v35
	global_load_dwordx4 v[36:39], v[36:37], off offset:144
	s_nop 0
	global_load_dwordx4 v[40:43], v[26:27], off offset:144
	v_lshlrev_b64 v[26:27], 3, v[7:8]
	v_add_co_u32_e32 v7, vcc, s8, v26
	v_addc_co_u32_e32 v0, vcc, v0, v27, vcc
	v_add_co_u32_e32 v26, vcc, s4, v7
	v_addc_co_u32_e32 v27, vcc, 0, v0, vcc
	global_load_dwordx4 v[44:47], v[26:27], off offset:144
	v_mul_lo_u32 v0, s7, v3
	v_mul_lo_u32 v7, s6, v4
	v_mad_u64_u32 v[3:4], s[0:1], s6, v3, 0
	s_mov_b32 s0, 0xf2b9d649
	s_movk_i32 s1, 0x21c
	v_add3_u32 v4, v4, v7, v0
	v_lshlrev_b64 v[3:4], 3, v[3:4]
	v_add_co_u32_e32 v3, vcc, s14, v3
	s_waitcnt vmcnt(2)
	v_mul_f32_e32 v0, v16, v37
	v_mul_f32_e32 v7, v32, v39
	s_waitcnt lgkmcnt(1)
	v_mul_f32_e32 v26, v24, v37
	s_waitcnt lgkmcnt(0)
	v_mul_f32_e32 v27, v33, v39
	s_waitcnt vmcnt(1)
	v_mul_f32_e32 v34, v15, v41
	v_mul_f32_e32 v37, v12, v43
	;; [unrolled: 1-line block ×3, first 2 shown]
	v_fma_f32 v0, v24, v36, -v0
	v_fma_f32 v7, v33, v38, -v7
	v_fmac_f32_e32 v26, v16, v36
	v_fmac_f32_e32 v27, v32, v38
	v_fma_f32 v16, v23, v40, -v34
	v_fma_f32 v23, v20, v42, -v37
	v_fmac_f32_e32 v39, v15, v40
	v_add_f32_e32 v15, v0, v7
	v_add_f32_e32 v24, v26, v27
	v_mul_f32_e32 v41, v20, v43
	v_sub_f32_e32 v34, v26, v27
	v_add_f32_e32 v20, v21, v0
	v_add_f32_e32 v26, v13, v26
	;; [unrolled: 1-line block ×4, first 2 shown]
	v_sub_f32_e32 v38, v16, v23
	v_fma_f32 v16, -0.5, v15, v21
	v_fma_f32 v15, -0.5, v24, v13
	v_sub_f32_e32 v0, v0, v7
	v_add_f32_e32 v21, v20, v7
	v_add_f32_e32 v20, v26, v27
	v_mov_b32_e32 v26, v15
	v_fmac_f32_e32 v41, v12, v42
	s_waitcnt vmcnt(0)
	v_mul_f32_e32 v12, v14, v45
	v_fmac_f32_e32 v15, 0xbf5db3d7, v0
	v_fmac_f32_e32 v26, 0x3f5db3d7, v0
	v_mul_f32_e32 v0, v11, v47
	v_fma_f32 v40, v22, v44, -v12
	v_fma_f32 v0, v19, v46, -v0
	v_add_f32_e32 v7, v40, v0
	v_fma_f32 v13, -0.5, v32, v18
	v_fma_f32 v18, -0.5, v7, v17
	v_mul_f32_e32 v7, v22, v45
	v_fmac_f32_e32 v7, v14, v44
	v_mul_f32_e32 v14, v19, v47
	v_add_f32_e32 v37, v39, v41
	v_fmac_f32_e32 v14, v11, v46
	v_sub_f32_e32 v36, v39, v41
	v_add_f32_e32 v39, v10, v39
	v_fma_f32 v12, -0.5, v37, v10
	v_sub_f32_e32 v10, v7, v14
	v_mov_b32_e32 v11, v18
	v_fmac_f32_e32 v11, 0xbf5db3d7, v10
	v_fmac_f32_e32 v18, 0x3f5db3d7, v10
	v_add_f32_e32 v10, v17, v40
	v_add_f32_e32 v37, v10, v0
	v_add_f32_e32 v10, v7, v14
	v_mul_hi_u32 v19, v35, s0
	v_fma_f32 v17, -0.5, v10, v9
	v_sub_f32_e32 v0, v40, v0
	v_mov_b32_e32 v10, v17
	v_add_f32_e32 v24, v33, v23
	v_mov_b32_e32 v33, v13
	v_fmac_f32_e32 v10, 0x3f5db3d7, v0
	v_fmac_f32_e32 v17, 0xbf5db3d7, v0
	v_add_f32_e32 v0, v9, v7
	v_fmac_f32_e32 v13, 0x3f5db3d7, v36
	v_fmac_f32_e32 v33, 0xbf5db3d7, v36
	v_add_f32_e32 v36, v0, v14
	v_lshrrev_b32_e32 v0, 9, v19
	v_mul_u32_u24_e32 v0, 0x21c, v0
	v_sub_u32_e32 v7, v35, v0
	v_mov_b32_e32 v0, s15
	v_addc_co_u32_e32 v4, vcc, v0, v4, vcc
	v_lshlrev_b64 v[0:1], 3, v[1:2]
	v_add_f32_e32 v23, v39, v41
	v_add_co_u32_e32 v2, vcc, v3, v0
	v_addc_co_u32_e32 v3, vcc, v4, v1, vcc
	v_lshlrev_b32_e32 v0, 3, v7
	v_add_co_u32_e32 v0, vcc, v2, v0
	v_addc_co_u32_e32 v1, vcc, 0, v3, vcc
	v_add_u32_e32 v4, 0xa2, v35
	global_store_dwordx2 v[0:1], v[36:37], off
	v_add_co_u32_e32 v36, vcc, s4, v0
	v_mul_hi_u32 v7, v4, s0
	v_addc_co_u32_e32 v37, vcc, 0, v1, vcc
	s_movk_i32 s4, 0x2000
	v_add_co_u32_e32 v0, vcc, s4, v0
	v_addc_co_u32_e32 v1, vcc, 0, v1, vcc
	global_store_dwordx2 v[0:1], v[10:11], off offset:448
	v_lshrrev_b32_e32 v0, 9, v7
	v_mul_u32_u24_e32 v1, 0x21c, v0
	v_sub_u32_e32 v1, v4, v1
	s_movk_i32 s4, 0x654
	v_mad_u32_u24 v7, v0, s4, v1
	v_lshlrev_b64 v[0:1], 3, v[7:8]
	global_store_dwordx2 v[36:37], v[17:18], off offset:224
	v_add_co_u32_e32 v0, vcc, v2, v0
	v_addc_co_u32_e32 v1, vcc, v3, v1, vcc
	global_store_dwordx2 v[0:1], v[23:24], off
	v_add_u32_e32 v0, 0x21c, v7
	v_mov_b32_e32 v1, v8
	v_lshlrev_b64 v[0:1], 3, v[0:1]
	v_mov_b32_e32 v32, v12
	v_add_co_u32_e32 v0, vcc, v2, v0
	v_fmac_f32_e32 v12, 0xbf5db3d7, v38
	v_addc_co_u32_e32 v1, vcc, v3, v1, vcc
	v_add_u32_e32 v7, 0x438, v7
	v_add_u32_e32 v4, 0x144, v35
	global_store_dwordx2 v[0:1], v[12:13], off
	v_lshlrev_b64 v[0:1], 3, v[7:8]
	v_mul_hi_u32 v7, v4, s0
	v_add_co_u32_e32 v0, vcc, v2, v0
	v_fmac_f32_e32 v32, 0x3f5db3d7, v38
	v_addc_co_u32_e32 v1, vcc, v3, v1, vcc
	global_store_dwordx2 v[0:1], v[32:33], off
	v_lshrrev_b32_e32 v0, 9, v7
	v_mul_u32_u24_e32 v1, 0x21c, v0
	v_sub_u32_e32 v1, v4, v1
	v_mad_u32_u24 v7, v0, s4, v1
	v_lshlrev_b64 v[0:1], 3, v[7:8]
	v_mov_b32_e32 v27, v16
	v_add_co_u32_e32 v0, vcc, v2, v0
	v_addc_co_u32_e32 v1, vcc, v3, v1, vcc
	global_store_dwordx2 v[0:1], v[20:21], off
	v_add_u32_e32 v0, 0x21c, v7
	v_mov_b32_e32 v1, v8
	v_lshlrev_b64 v[0:1], 3, v[0:1]
	v_fmac_f32_e32 v16, 0x3f5db3d7, v34
	v_add_co_u32_e32 v0, vcc, v2, v0
	v_addc_co_u32_e32 v1, vcc, v3, v1, vcc
	v_add_u32_e32 v7, 0x438, v7
	global_store_dwordx2 v[0:1], v[15:16], off
	v_lshlrev_b64 v[0:1], 3, v[7:8]
	v_fmac_f32_e32 v27, 0xbf5db3d7, v34
	v_add_co_u32_e32 v0, vcc, v2, v0
	v_addc_co_u32_e32 v1, vcc, v3, v1, vcc
	global_store_dwordx2 v[0:1], v[26:27], off
	v_add_u32_e32 v0, 0x1e6, v35
	v_cmp_gt_u32_e32 vcc, s1, v0
	s_and_b64 exec, exec, vcc
	s_cbranch_execz .LBB0_44
; %bb.43:
	v_subrev_u32_e32 v1, 54, v35
	v_cndmask_b32_e64 v1, v1, v25, s[2:3]
	v_lshlrev_b32_e32 v7, 1, v1
	v_lshlrev_b64 v[9:10], 3, v[7:8]
	v_mov_b32_e32 v1, s9
	v_add_co_u32_e32 v4, vcc, s8, v9
	v_addc_co_u32_e32 v1, vcc, v1, v10, vcc
	v_add_co_u32_e32 v9, vcc, 0x1000, v4
	v_addc_co_u32_e32 v10, vcc, 0, v1, vcc
	global_load_dwordx4 v[9:12], v[9:10], off offset:144
	v_mov_b32_e32 v1, v8
	v_lshlrev_b64 v[0:1], 3, v[0:1]
	v_add_u32_e32 v7, 0x402, v35
	v_add_co_u32_e32 v0, vcc, v2, v0
	v_lshlrev_b64 v[13:14], 3, v[7:8]
	v_addc_co_u32_e32 v1, vcc, v3, v1, vcc
	v_add_u32_e32 v7, 0x61e, v35
	v_lshlrev_b64 v[7:8], 3, v[7:8]
	v_add_co_u32_e32 v13, vcc, v2, v13
	v_addc_co_u32_e32 v14, vcc, v3, v14, vcc
	v_add_co_u32_e32 v2, vcc, v2, v7
	v_addc_co_u32_e32 v3, vcc, v3, v8, vcc
	s_waitcnt vmcnt(0)
	v_mul_f32_e32 v4, v30, v10
	v_mul_f32_e32 v7, v28, v10
	;; [unrolled: 1-line block ×4, first 2 shown]
	v_fmac_f32_e32 v4, v28, v9
	v_fma_f32 v7, v30, v9, -v7
	v_fmac_f32_e32 v8, v29, v11
	v_fma_f32 v9, v31, v11, -v10
	v_add_f32_e32 v11, v4, v8
	v_add_f32_e32 v16, v7, v9
	;; [unrolled: 1-line block ×4, first 2 shown]
	v_fmac_f32_e32 v5, -0.5, v11
	v_fmac_f32_e32 v6, -0.5, v16
	v_sub_f32_e32 v12, v7, v9
	v_sub_f32_e32 v4, v4, v8
	v_add_f32_e32 v7, v10, v8
	v_add_f32_e32 v8, v15, v9
	v_mov_b32_e32 v9, v5
	v_mov_b32_e32 v10, v6
	v_fmac_f32_e32 v9, 0xbf5db3d7, v12
	v_fmac_f32_e32 v10, 0x3f5db3d7, v4
	;; [unrolled: 1-line block ×4, first 2 shown]
	global_store_dwordx2 v[0:1], v[7:8], off
	global_store_dwordx2 v[13:14], v[9:10], off
	;; [unrolled: 1-line block ×3, first 2 shown]
.LBB0_44:
	s_endpgm
	.section	.rodata,"a",@progbits
	.p2align	6, 0x0
	.amdhsa_kernel fft_rtc_back_len1620_factors_10_3_3_6_3_wgs_162_tpt_162_halfLds_sp_op_CI_CI_unitstride_sbrr_dirReg
		.amdhsa_group_segment_fixed_size 0
		.amdhsa_private_segment_fixed_size 0
		.amdhsa_kernarg_size 104
		.amdhsa_user_sgpr_count 6
		.amdhsa_user_sgpr_private_segment_buffer 1
		.amdhsa_user_sgpr_dispatch_ptr 0
		.amdhsa_user_sgpr_queue_ptr 0
		.amdhsa_user_sgpr_kernarg_segment_ptr 1
		.amdhsa_user_sgpr_dispatch_id 0
		.amdhsa_user_sgpr_flat_scratch_init 0
		.amdhsa_user_sgpr_private_segment_size 0
		.amdhsa_uses_dynamic_stack 0
		.amdhsa_system_sgpr_private_segment_wavefront_offset 0
		.amdhsa_system_sgpr_workgroup_id_x 1
		.amdhsa_system_sgpr_workgroup_id_y 0
		.amdhsa_system_sgpr_workgroup_id_z 0
		.amdhsa_system_sgpr_workgroup_info 0
		.amdhsa_system_vgpr_workitem_id 0
		.amdhsa_next_free_vgpr 64
		.amdhsa_next_free_sgpr 28
		.amdhsa_reserve_vcc 1
		.amdhsa_reserve_flat_scratch 0
		.amdhsa_float_round_mode_32 0
		.amdhsa_float_round_mode_16_64 0
		.amdhsa_float_denorm_mode_32 3
		.amdhsa_float_denorm_mode_16_64 3
		.amdhsa_dx10_clamp 1
		.amdhsa_ieee_mode 1
		.amdhsa_fp16_overflow 0
		.amdhsa_exception_fp_ieee_invalid_op 0
		.amdhsa_exception_fp_denorm_src 0
		.amdhsa_exception_fp_ieee_div_zero 0
		.amdhsa_exception_fp_ieee_overflow 0
		.amdhsa_exception_fp_ieee_underflow 0
		.amdhsa_exception_fp_ieee_inexact 0
		.amdhsa_exception_int_div_zero 0
	.end_amdhsa_kernel
	.text
.Lfunc_end0:
	.size	fft_rtc_back_len1620_factors_10_3_3_6_3_wgs_162_tpt_162_halfLds_sp_op_CI_CI_unitstride_sbrr_dirReg, .Lfunc_end0-fft_rtc_back_len1620_factors_10_3_3_6_3_wgs_162_tpt_162_halfLds_sp_op_CI_CI_unitstride_sbrr_dirReg
                                        ; -- End function
	.section	.AMDGPU.csdata,"",@progbits
; Kernel info:
; codeLenInByte = 7560
; NumSgprs: 32
; NumVgprs: 64
; ScratchSize: 0
; MemoryBound: 0
; FloatMode: 240
; IeeeMode: 1
; LDSByteSize: 0 bytes/workgroup (compile time only)
; SGPRBlocks: 3
; VGPRBlocks: 15
; NumSGPRsForWavesPerEU: 32
; NumVGPRsForWavesPerEU: 64
; Occupancy: 4
; WaveLimiterHint : 1
; COMPUTE_PGM_RSRC2:SCRATCH_EN: 0
; COMPUTE_PGM_RSRC2:USER_SGPR: 6
; COMPUTE_PGM_RSRC2:TRAP_HANDLER: 0
; COMPUTE_PGM_RSRC2:TGID_X_EN: 1
; COMPUTE_PGM_RSRC2:TGID_Y_EN: 0
; COMPUTE_PGM_RSRC2:TGID_Z_EN: 0
; COMPUTE_PGM_RSRC2:TIDIG_COMP_CNT: 0
	.type	__hip_cuid_8f18aa6b6dd8cb47,@object ; @__hip_cuid_8f18aa6b6dd8cb47
	.section	.bss,"aw",@nobits
	.globl	__hip_cuid_8f18aa6b6dd8cb47
__hip_cuid_8f18aa6b6dd8cb47:
	.byte	0                               ; 0x0
	.size	__hip_cuid_8f18aa6b6dd8cb47, 1

	.ident	"AMD clang version 19.0.0git (https://github.com/RadeonOpenCompute/llvm-project roc-6.4.0 25133 c7fe45cf4b819c5991fe208aaa96edf142730f1d)"
	.section	".note.GNU-stack","",@progbits
	.addrsig
	.addrsig_sym __hip_cuid_8f18aa6b6dd8cb47
	.amdgpu_metadata
---
amdhsa.kernels:
  - .args:
      - .actual_access:  read_only
        .address_space:  global
        .offset:         0
        .size:           8
        .value_kind:     global_buffer
      - .offset:         8
        .size:           8
        .value_kind:     by_value
      - .actual_access:  read_only
        .address_space:  global
        .offset:         16
        .size:           8
        .value_kind:     global_buffer
      - .actual_access:  read_only
        .address_space:  global
        .offset:         24
        .size:           8
        .value_kind:     global_buffer
      - .actual_access:  read_only
        .address_space:  global
        .offset:         32
        .size:           8
        .value_kind:     global_buffer
      - .offset:         40
        .size:           8
        .value_kind:     by_value
      - .actual_access:  read_only
        .address_space:  global
        .offset:         48
        .size:           8
        .value_kind:     global_buffer
      - .actual_access:  read_only
        .address_space:  global
        .offset:         56
        .size:           8
        .value_kind:     global_buffer
      - .offset:         64
        .size:           4
        .value_kind:     by_value
      - .actual_access:  read_only
        .address_space:  global
        .offset:         72
        .size:           8
        .value_kind:     global_buffer
      - .actual_access:  read_only
        .address_space:  global
        .offset:         80
        .size:           8
        .value_kind:     global_buffer
      - .actual_access:  read_only
        .address_space:  global
        .offset:         88
        .size:           8
        .value_kind:     global_buffer
      - .actual_access:  write_only
        .address_space:  global
        .offset:         96
        .size:           8
        .value_kind:     global_buffer
    .group_segment_fixed_size: 0
    .kernarg_segment_align: 8
    .kernarg_segment_size: 104
    .language:       OpenCL C
    .language_version:
      - 2
      - 0
    .max_flat_workgroup_size: 162
    .name:           fft_rtc_back_len1620_factors_10_3_3_6_3_wgs_162_tpt_162_halfLds_sp_op_CI_CI_unitstride_sbrr_dirReg
    .private_segment_fixed_size: 0
    .sgpr_count:     32
    .sgpr_spill_count: 0
    .symbol:         fft_rtc_back_len1620_factors_10_3_3_6_3_wgs_162_tpt_162_halfLds_sp_op_CI_CI_unitstride_sbrr_dirReg.kd
    .uniform_work_group_size: 1
    .uses_dynamic_stack: false
    .vgpr_count:     64
    .vgpr_spill_count: 0
    .wavefront_size: 64
amdhsa.target:   amdgcn-amd-amdhsa--gfx906
amdhsa.version:
  - 1
  - 2
...

	.end_amdgpu_metadata
